;; amdgpu-corpus repo=ROCm/rocFFT kind=compiled arch=gfx1201 opt=O3
	.text
	.amdgcn_target "amdgcn-amd-amdhsa--gfx1201"
	.amdhsa_code_object_version 6
	.protected	fft_rtc_back_len343_factors_7_7_7_wgs_245_tpt_49_half_op_CI_CI_sbrc_z_xy_diag_dirReg ; -- Begin function fft_rtc_back_len343_factors_7_7_7_wgs_245_tpt_49_half_op_CI_CI_sbrc_z_xy_diag_dirReg
	.globl	fft_rtc_back_len343_factors_7_7_7_wgs_245_tpt_49_half_op_CI_CI_sbrc_z_xy_diag_dirReg
	.p2align	8
	.type	fft_rtc_back_len343_factors_7_7_7_wgs_245_tpt_49_half_op_CI_CI_sbrc_z_xy_diag_dirReg,@function
fft_rtc_back_len343_factors_7_7_7_wgs_245_tpt_49_half_op_CI_CI_sbrc_z_xy_diag_dirReg: ; @fft_rtc_back_len343_factors_7_7_7_wgs_245_tpt_49_half_op_CI_CI_sbrc_z_xy_diag_dirReg
; %bb.0:
	s_clause 0x2
	s_load_b256 s[4:11], s[0:1], 0x0
	s_load_b128 s[12:15], s[0:1], 0x58
	s_load_b64 s[24:25], s[0:1], 0x20
	v_add_nc_u16 v5, v0, 0x3d4
	v_add_nc_u16 v1, v0, 0xf5
	;; [unrolled: 1-line block ×3, first 2 shown]
	v_mov_b32_e32 v2, 0
	v_add_nc_u16 v4, v0, 0x2df
	v_and_b32_e32 v9, 0xffff, v5
	v_and_b32_e32 v6, 0xffff, v1
	;; [unrolled: 1-line block ×3, first 2 shown]
	v_add_nc_u16 v18, v0, 0x4c9
	v_and_b32_e32 v8, 0xffff, v4
	v_mul_u32_u24_e32 v9, 0x5f9, v9
	v_mul_u32_u24_e32 v6, 0x17f, v6
	;; [unrolled: 1-line block ×3, first 2 shown]
	v_and_b32_e32 v10, 0xffff, v18
	v_mul_u32_u24_e32 v8, 0x2fd, v8
	v_lshrrev_b32_e32 v27, 19, v9
	v_lshrrev_b32_e32 v24, 17, v6
	;; [unrolled: 1-line block ×3, first 2 shown]
	s_wait_kmcnt 0x0
	s_load_b128 s[0:3], s[8:9], 0x8
	s_load_b128 s[16:19], s[10:11], 0x0
	v_mul_u32_u24_e32 v10, 0x5f9, v10
	v_mul_lo_u16 v6, 0x157, v24
	v_mul_lo_u16 v7, 0x157, v25
	v_lshrrev_b32_e32 v26, 18, v8
	v_add_nc_u16 v19, v0, 0x5be
	v_lshrrev_b32_e32 v28, 19, v10
	v_sub_nc_u16 v29, v1, v6
	v_sub_nc_u16 v30, v3, v7
	v_mul_lo_u16 v8, 0x157, v26
	v_mul_lo_u16 v10, 0x157, v27
	s_mov_b32 s21, 0
	v_and_b32_e32 v15, 0xffff, v29
	v_and_b32_e32 v16, 0xffff, v30
	v_sub_nc_u16 v31, v4, v8
	v_sub_nc_u16 v32, v5, v10
	s_mov_b32 s23, s21
	s_delay_alu instid0(VALU_DEP_2) | instskip(SKIP_2) | instid1(SALU_CYCLE_1)
	v_and_b32_e32 v17, 0xffff, v31
	s_wait_kmcnt 0x0
	s_add_co_i32 s0, s0, -1
	s_mul_hi_u32 s0, s0, 0xcccccccd
	s_delay_alu instid0(SALU_CYCLE_1) | instskip(NEXT) | instid1(SALU_CYCLE_1)
	s_lshr_b32 s0, s0, 2
	s_add_co_i32 s0, s0, 1
	s_delay_alu instid0(SALU_CYCLE_1) | instskip(SKIP_3) | instid1(SALU_CYCLE_2)
	s_mul_i32 s0, s0, s2
	s_load_b32 s2, s[10:11], 0x10
	s_cvt_f32_u32 s1, s0
	s_sub_co_i32 s3, 0, s0
	v_rcp_iflag_f32_e32 v9, s1
	s_delay_alu instid0(TRANS32_DEP_1) | instskip(NEXT) | instid1(VALU_DEP_1)
	v_readfirstlane_b32 s1, v9
	s_mul_f32 s1, s1, 0x4f7ffffe
	s_wait_alu 0xfffe
	s_delay_alu instid0(SALU_CYCLE_2) | instskip(SKIP_1) | instid1(SALU_CYCLE_2)
	s_cvt_u32_f32 s1, s1
	s_wait_alu 0xfffe
	s_mul_i32 s3, s3, s1
	s_delay_alu instid0(SALU_CYCLE_1) | instskip(NEXT) | instid1(SALU_CYCLE_1)
	s_mul_hi_u32 s3, s1, s3
	s_add_co_i32 s1, s1, s3
	s_wait_alu 0xfffe
	s_mul_hi_u32 s1, ttmp9, s1
	s_wait_alu 0xfffe
	s_mul_i32 s3, s1, s0
	s_add_co_i32 s8, s1, 1
	s_sub_co_i32 s3, ttmp9, s3
	s_delay_alu instid0(SALU_CYCLE_1)
	s_sub_co_i32 s9, s3, s0
	s_cmp_ge_u32 s3, s0
	s_cselect_b32 s1, s8, s1
	s_cselect_b32 s3, s9, s3
	s_wait_alu 0xfffe
	s_add_co_i32 s8, s1, 1
	s_cmp_ge_u32 s3, s0
	s_cselect_b32 s22, s8, s1
	s_lshl_b64 s[6:7], s[6:7], 3
	s_mul_i32 s3, s22, s0
	s_add_nc_u64 s[0:1], s[10:11], s[6:7]
	s_wait_alu 0xfffe
	s_sub_co_i32 s3, ttmp9, s3
	s_load_b64 s[0:1], s[0:1], 0x0
	v_mad_co_u64_u32 v[3:4], null, s16, v0, 0
	v_mad_co_u64_u32 v[5:6], null, s16, v15, 0
	v_mad_co_u64_u32 v[7:8], null, s16, v16, 0
	s_mul_hi_u32 s8, s3, 0x5397829d
	v_mad_co_u64_u32 v[9:10], null, s16, v17, 0
	s_lshr_b32 s8, s8, 4
	s_delay_alu instid0(VALU_DEP_3) | instskip(SKIP_1) | instid1(VALU_DEP_3)
	v_mad_co_u64_u32 v[13:14], null, s17, v0, v[4:5]
	s_mul_i32 s9, s8, 49
	v_mad_co_u64_u32 v[14:15], null, s17, v15, v[6:7]
	s_sub_co_i32 s9, s3, s9
	v_and_b32_e32 v11, 0xffff, v19
	s_add_co_i32 s8, s8, s9
	v_mad_co_u64_u32 v[15:16], null, s17, v16, v[8:9]
	s_mul_hi_u32 s3, s8, 0xbf112a8b
	s_delay_alu instid0(VALU_DEP_3)
	v_mov_b32_e32 v6, v14
	s_lshr_b32 s3, s3, 8
	s_mul_i32 s9, s9, 5
	s_mulk_i32 s3, 0x157
	v_mul_lo_u32 v1, s18, v24
	s_sub_co_i32 s8, s8, s3
	v_mov_b32_e32 v4, v13
	s_mul_i32 s10, s9, s18
	s_wait_kmcnt 0x0
	s_mul_u64 s[0:1], s[0:1], s[22:23]
	s_mul_i32 s2, s8, s2
	v_lshlrev_b64_e32 v[5:6], 2, v[5:6]
	s_wait_alu 0xfffe
	s_lshl_b64 s[0:1], s[0:1], 2
	s_add_co_i32 s20, s2, s10
	s_wait_alu 0xfffe
	s_add_nc_u64 s[0:1], s[12:13], s[0:1]
	s_lshl_b64 s[2:3], s[20:21], 2
	v_lshlrev_b64_e32 v[3:4], 2, v[3:4]
	v_mov_b32_e32 v8, v15
	s_wait_alu 0xfffe
	s_add_nc_u64 s[0:1], s[0:1], s[2:3]
	v_mul_u32_u24_e32 v20, 0x5f9, v11
	v_lshlrev_b64_e32 v[11:12], 2, v[1:2]
	s_wait_alu 0xfffe
	v_add_co_u32 v5, vcc_lo, s0, v5
	v_add_co_ci_u32_e32 v6, vcc_lo, s1, v6, vcc_lo
	v_mul_lo_u32 v1, s18, v25
	v_lshlrev_b64_e32 v[7:8], 2, v[7:8]
	v_add_co_u32 v3, vcc_lo, s0, v3
	s_wait_alu 0xfffd
	v_add_co_ci_u32_e32 v4, vcc_lo, s1, v4, vcc_lo
	v_add_co_u32 v5, vcc_lo, v5, v11
	s_wait_alu 0xfffd
	v_add_co_ci_u32_e32 v6, vcc_lo, v6, v12, vcc_lo
	v_add_co_u32 v13, vcc_lo, s0, v7
	s_wait_alu 0xfffd
	v_add_co_ci_u32_e32 v14, vcc_lo, s1, v8, vcc_lo
	v_lshlrev_b64_e32 v[7:8], 2, v[1:2]
	v_mul_lo_u16 v1, 0x157, v28
	v_lshrrev_b32_e32 v33, 19, v20
	v_and_b32_e32 v15, 0xffff, v32
	v_mad_co_u64_u32 v[16:17], null, s17, v17, v[10:11]
	s_delay_alu instid0(VALU_DEP_4) | instskip(SKIP_3) | instid1(VALU_DEP_4)
	v_sub_nc_u16 v34, v18, v1
	v_add_co_u32 v7, vcc_lo, v13, v7
	v_mul_lo_u16 v1, 0x157, v33
	v_mad_co_u64_u32 v[11:12], null, s16, v15, 0
	v_and_b32_e32 v20, 0xffff, v34
	s_wait_alu 0xfffd
	v_add_co_ci_u32_e32 v8, vcc_lo, v14, v8, vcc_lo
	v_sub_nc_u16 v35, v19, v1
	v_mov_b32_e32 v10, v16
	v_mad_co_u64_u32 v[13:14], null, s16, v20, 0
	v_mul_lo_u32 v1, s18, v26
	s_delay_alu instid0(VALU_DEP_4) | instskip(NEXT) | instid1(VALU_DEP_4)
	v_and_b32_e32 v22, 0xffff, v35
	v_lshlrev_b64_e32 v[9:10], 2, v[9:10]
	s_add_nc_u64 s[6:7], s[24:25], s[6:7]
	s_delay_alu instid0(VALU_DEP_4) | instskip(NEXT) | instid1(VALU_DEP_3)
	v_mad_co_u64_u32 v[15:16], null, s17, v15, v[12:13]
	v_mad_co_u64_u32 v[16:17], null, s16, v22, 0
	s_delay_alu instid0(VALU_DEP_3)
	v_add_co_u32 v21, vcc_lo, s0, v9
	v_mov_b32_e32 v9, v14
	v_lshlrev_b64_e32 v[18:19], 2, v[1:2]
	v_mov_b32_e32 v12, v15
	s_wait_alu 0xfffd
	v_add_co_ci_u32_e32 v23, vcc_lo, s1, v10, vcc_lo
	v_mad_co_u64_u32 v[9:10], null, s17, v20, v[9:10]
	s_delay_alu instid0(VALU_DEP_3)
	v_lshlrev_b64_e32 v[11:12], 2, v[11:12]
	v_mul_lo_u32 v1, s18, v27
	v_mov_b32_e32 v10, v17
	v_add_co_u32 v18, vcc_lo, v21, v18
	s_wait_alu 0xfffd
	v_add_co_ci_u32_e32 v19, vcc_lo, v23, v19, vcc_lo
	s_delay_alu instid0(VALU_DEP_3)
	v_mad_co_u64_u32 v[22:23], null, s17, v22, v[10:11]
	v_lshlrev_b64_e32 v[20:21], 2, v[1:2]
	v_mul_lo_u32 v1, s18, v28
	v_mov_b32_e32 v14, v9
	v_add_co_u32 v11, vcc_lo, s0, v11
	s_wait_alu 0xfffd
	v_add_co_ci_u32_e32 v12, vcc_lo, s1, v12, vcc_lo
	v_mov_b32_e32 v17, v22
	v_lshlrev_b64_e32 v[9:10], 2, v[13:14]
	v_lshlrev_b64_e32 v[13:14], 2, v[1:2]
	v_mul_lo_u32 v1, s18, v33
	v_add_co_u32 v11, vcc_lo, v11, v20
	v_lshlrev_b64_e32 v[15:16], 2, v[16:17]
	s_wait_alu 0xfffd
	v_add_co_ci_u32_e32 v12, vcc_lo, v12, v21, vcc_lo
	v_add_co_u32 v17, vcc_lo, s0, v9
	s_wait_alu 0xfffd
	v_add_co_ci_u32_e32 v20, vcc_lo, s1, v10, vcc_lo
	v_add_co_u32 v15, vcc_lo, s0, v15
	v_lshlrev_b64_e32 v[9:10], 2, v[1:2]
	s_wait_alu 0xfffd
	v_add_co_ci_u32_e32 v16, vcc_lo, s1, v16, vcc_lo
	v_add_co_u32 v13, vcc_lo, v17, v13
	s_wait_alu 0xfffd
	v_add_co_ci_u32_e32 v14, vcc_lo, v20, v14, vcc_lo
	v_add_co_u32 v9, vcc_lo, v15, v9
	s_wait_alu 0xfffd
	v_add_co_ci_u32_e32 v10, vcc_lo, v16, v10, vcc_lo
	s_clause 0x6
	global_load_b32 v1, v[3:4], off
	global_load_b32 v15, v[5:6], off
	;; [unrolled: 1-line block ×7, first 2 shown]
	v_mul_u32_u24_e32 v3, 0x3334, v0
	v_mad_u16 v17, v31, 5, v26
	v_mad_u16 v18, v32, 5, v27
	;; [unrolled: 1-line block ×4, first 2 shown]
	v_lshrrev_b32_e32 v13, 16, v3
	v_mul_lo_u16 v3, v0, 5
	v_and_b32_e32 v17, 0xffff, v17
	v_and_b32_e32 v18, 0xffff, v18
	v_and_b32_e32 v20, 0xffff, v20
	v_mul_lo_u16 v4, v13, 5
	v_and_b32_e32 v3, 0xffff, v3
	v_mul_lo_u16 v5, v13, 37
	v_and_b32_e32 v21, 0xffff, v21
	v_lshl_add_u32 v17, v17, 2, 0
	v_sub_nc_u16 v4, v0, v4
	v_lshl_add_u32 v10, v3, 2, 0
	v_mul_u32_u24_e32 v3, 20, v13
	v_lshrrev_b16 v14, 8, v5
	v_mad_u16 v5, v30, 5, v25
	v_and_b32_e32 v6, 0xffff, v4
	v_mad_u16 v4, v29, 5, v24
	s_clause 0x1
	s_load_b128 s[0:3], s[24:25], 0x0
	s_load_b64 s[6:7], s[6:7], 0x0
	v_and_b32_e32 v23, 0xffff, v5
	v_lshlrev_b32_e32 v19, 2, v6
	v_and_b32_e32 v22, 0xffff, v4
	v_lshl_add_u32 v18, v18, 2, 0
	s_wait_kmcnt 0x0
	s_load_b32 s3, s[24:25], 0x10
	v_lshl_add_u32 v23, v23, 2, 0
	v_add3_u32 v3, 0, v3, v19
	v_lshl_add_u32 v22, v22, 2, 0
	v_lshl_add_u32 v20, v20, 2, 0
	;; [unrolled: 1-line block ×3, first 2 shown]
	v_mul_lo_u16 v16, v14, 7
	v_add_nc_u32_e32 v4, 0x780, v3
	v_add_nc_u32_e32 v5, 0xf40, v3
	v_mul_u32_u24_e32 v0, 0x10c, v0
	s_wait_loadcnt 0x6
	ds_store_b32 v10, v1
	s_wait_loadcnt 0x5
	ds_store_b32 v22, v15
	;; [unrolled: 2-line block ×7, first 2 shown]
	global_wb scope:SCOPE_SE
	s_wait_dscnt 0x0
	s_wait_kmcnt 0x0
	s_barrier_signal -1
	s_barrier_wait -1
	global_inv scope:SCOPE_SE
	ds_load_2addr_b32 v[7:8], v3 offset1:245
	ds_load_2addr_b32 v[9:10], v4 offset0:10 offset1:255
	ds_load_b32 v1, v3 offset:5880
	ds_load_2addr_b32 v[11:12], v5 offset0:4 offset1:249
	v_sub_nc_u16 v15, v13, v16
	v_mad_u32_u24 v16, 0x78, v13, v3
	global_wb scope:SCOPE_SE
	s_wait_dscnt 0x0
	s_barrier_signal -1
	s_barrier_wait -1
	v_and_b32_e32 v20, 0xff, v15
	global_inv scope:SCOPE_SE
	v_lshrrev_b32_e32 v0, 16, v0
	s_mul_i32 s20, s8, s2
	v_mul_u32_u24_e32 v15, 6, v20
	s_delay_alu instid0(VALU_DEP_2) | instskip(NEXT) | instid1(VALU_DEP_2)
	v_mul_lo_u16 v0, 0x157, v0
	v_lshlrev_b32_e32 v15, 2, v15
	s_delay_alu instid0(VALU_DEP_2)
	v_and_b32_e32 v0, 0xffff, v0
	v_pk_add_f16 v17, v8, v1
	v_pk_add_f16 v18, v9, v12
	v_pk_add_f16 v9, v9, v12 neg_lo:[0,1] neg_hi:[0,1]
	v_pk_add_f16 v12, v10, v11
	v_pk_add_f16 v1, v8, v1 neg_lo:[0,1] neg_hi:[0,1]
	v_pk_add_f16 v10, v11, v10 neg_lo:[0,1] neg_hi:[0,1]
	v_pk_add_f16 v8, v18, v17
	v_pk_add_f16 v11, v18, v17 neg_lo:[0,1] neg_hi:[0,1]
	v_pk_add_f16 v17, v17, v12 neg_lo:[0,1] neg_hi:[0,1]
	v_pk_add_f16 v23, v9, v1 op_sel:[1,1] op_sel_hi:[0,0] neg_lo:[0,1] neg_hi:[0,1]
	v_pk_add_f16 v21, v10, v9 op_sel:[1,1] op_sel_hi:[0,0]
	v_pk_add_f16 v8, v12, v8
	v_pk_add_f16 v22, v1, v10 op_sel:[1,1] op_sel_hi:[0,0] neg_lo:[0,1] neg_hi:[0,1]
	v_pk_add_f16 v18, v12, v18 neg_lo:[0,1] neg_hi:[0,1]
	v_pk_add_f16 v9, v10, v9 op_sel:[1,1] op_sel_hi:[0,0] neg_lo:[0,1] neg_hi:[0,1]
	v_pk_mul_f16 v10, 0x3a52, v17 op_sel_hi:[0,1]
	v_pk_mul_f16 v12, 0xbb00, v23 op_sel_hi:[0,1]
	;; [unrolled: 1-line block ×3, first 2 shown]
	v_pk_add_f16 v7, v8, v7
	v_pk_add_f16 v1, v21, v1 op_sel:[0,1] op_sel_hi:[1,0]
	v_pk_mul_f16 v21, 0xb574, v22 op_sel_hi:[0,1]
	v_pk_fma_f16 v11, 0x39e0, v11, v10 op_sel_hi:[0,1,1] neg_lo:[0,1,1] neg_hi:[0,1,1]
	v_pk_fma_f16 v22, 0xb574, v22, v12 op_sel_hi:[0,1,1] neg_lo:[0,1,1] neg_hi:[0,1,1]
	v_pk_fma_f16 v17, 0x2b26, v18, v17 op_sel_hi:[0,1,1] neg_lo:[0,1,0] neg_hi:[0,1,0]
	v_pk_fma_f16 v8, 0xbcab, v8, v7 op_sel_hi:[0,1,1]
	v_pk_fma_f16 v12, 0x3846, v9, v12 op_sel_hi:[0,1,1] neg_lo:[0,1,0] neg_hi:[0,1,0]
	v_pk_fma_f16 v10, 0x2b26, v18, v10 op_sel_hi:[0,1,1]
	v_pk_fma_f16 v9, 0x3846, v9, v21 op_sel_hi:[0,1,1]
	v_pk_fma_f16 v18, 0xb70e, v1, v22 op_sel_hi:[0,1,1]
	v_pk_add_f16 v11, v11, v8
	v_pk_fma_f16 v12, 0xb70e, v1, v12 op_sel_hi:[0,1,1]
	v_pk_add_f16 v17, v17, v8
	v_pk_fma_f16 v1, 0xb70e, v1, v9 op_sel_hi:[0,1,1]
	v_pk_add_f16 v8, v10, v8
	v_pk_add_f16 v9, v11, v18
	v_pk_add_f16 v10, v11, v18 neg_lo:[0,1] neg_hi:[0,1]
	v_pk_add_f16 v11, v17, v12 neg_lo:[0,1] neg_hi:[0,1]
	v_pk_add_f16 v12, v17, v12
	v_pk_add_f16 v17, v8, v1
	v_pk_add_f16 v1, v8, v1 neg_lo:[0,1] neg_hi:[0,1]
	v_bfi_b32 v8, 0xffff, v9, v10
	v_bfi_b32 v9, 0xffff, v10, v9
	;; [unrolled: 1-line block ×6, first 2 shown]
	ds_store_2addr_b32 v16, v8, v18 offset0:10 offset1:15
	ds_store_2addr_b32 v16, v11, v9 offset0:20 offset1:25
	ds_store_2addr_b32 v16, v7, v10 offset1:5
	ds_store_b32 v16, v1 offset:120
	global_wb scope:SCOPE_SE
	s_wait_dscnt 0x0
	s_barrier_signal -1
	s_barrier_wait -1
	global_inv scope:SCOPE_SE
	s_clause 0x1
	global_load_b128 v[7:10], v15, s[4:5]
	global_load_b64 v[11:12], v15, s[4:5] offset:16
	v_mul_lo_u16 v1, v13, 21
	v_and_b32_e32 v21, 0xffff, v14
	s_delay_alu instid0(VALU_DEP_2) | instskip(NEXT) | instid1(VALU_DEP_2)
	v_lshrrev_b16 v1, 10, v1
	v_mad_u32_u24 v20, v21, 49, v20
	s_delay_alu instid0(VALU_DEP_2) | instskip(NEXT) | instid1(VALU_DEP_2)
	v_mul_lo_u16 v1, v1, 49
	v_mul_u32_u24_e32 v20, 20, v20
	s_delay_alu instid0(VALU_DEP_2)
	v_sub_nc_u16 v1, v13, v1
	ds_load_2addr_b32 v[13:14], v3 offset1:245
	ds_load_2addr_b32 v[15:16], v4 offset0:10 offset1:255
	ds_load_2addr_b32 v[17:18], v5 offset0:4 offset1:249
	ds_load_b32 v22, v3 offset:5880
	v_add3_u32 v19, 0, v20, v19
	global_wb scope:SCOPE_SE
	s_wait_loadcnt_dscnt 0x0
	v_and_b32_e32 v1, 0xff, v1
	s_barrier_signal -1
	s_barrier_wait -1
	global_inv scope:SCOPE_SE
	v_mul_u32_u24_e32 v21, 6, v1
	v_add_nc_u32_e32 v0, v1, v0
	s_delay_alu instid0(VALU_DEP_2) | instskip(NEXT) | instid1(VALU_DEP_2)
	v_lshlrev_b32_e32 v21, 2, v21
	v_mul_lo_u32 v1, v0, s3
	v_lshrrev_b32_e32 v20, 16, v14
	v_lshrrev_b32_e32 v23, 16, v15
	;; [unrolled: 1-line block ×13, first 2 shown]
	v_mul_f16_e32 v35, v29, v20
	v_mul_f16_e32 v29, v29, v14
	;; [unrolled: 1-line block ×12, first 2 shown]
	v_fmac_f16_e32 v35, v7, v14
	v_fma_f16 v7, v7, v20, -v29
	v_fmac_f16_e32 v36, v8, v15
	v_fma_f16 v8, v8, v23, -v30
	;; [unrolled: 2-line block ×6, first 2 shown]
	v_add_f16_e32 v14, v35, v40
	v_add_f16_e32 v15, v7, v12
	v_sub_f16_e32 v7, v7, v12
	v_add_f16_e32 v12, v36, v39
	v_add_f16_e32 v17, v8, v11
	v_sub_f16_e32 v18, v36, v39
	v_sub_f16_e32 v8, v8, v11
	v_add_f16_e32 v11, v37, v38
	v_add_f16_e32 v20, v9, v10
	v_sub_f16_e32 v22, v38, v37
	;; [unrolled: 4-line block ×3, first 2 shown]
	v_sub_f16_e32 v24, v12, v14
	v_sub_f16_e32 v25, v17, v15
	;; [unrolled: 1-line block ×6, first 2 shown]
	v_add_f16_e32 v26, v22, v18
	v_add_f16_e32 v27, v9, v8
	v_sub_f16_e32 v29, v22, v18
	v_sub_f16_e32 v30, v9, v8
	v_add_f16_e32 v10, v11, v10
	v_add_f16_e32 v11, v20, v23
	v_sub_f16_e32 v18, v18, v16
	v_sub_f16_e32 v8, v8, v7
	;; [unrolled: 1-line block ×4, first 2 shown]
	v_add_f16_e32 v16, v26, v16
	v_add_f16_e32 v7, v27, v7
	v_mul_f16_e32 v14, 0x3a52, v14
	v_mul_f16_e32 v15, 0x3a52, v15
	;; [unrolled: 1-line block ×6, first 2 shown]
	v_add_f16_e32 v13, v10, v13
	v_add_f16_e32 v28, v11, v28
	v_mul_f16_e32 v29, 0xbb00, v18
	v_mul_f16_e32 v30, 0xbb00, v8
	v_fmamk_f16 v12, v12, 0x2b26, v14
	v_fmamk_f16 v17, v17, 0x2b26, v15
	v_fma_f16 v20, v24, 0x39e0, -v20
	v_fma_f16 v23, v25, 0x39e0, -v23
	;; [unrolled: 1-line block ×4, first 2 shown]
	v_fmamk_f16 v24, v22, 0xb574, v26
	v_fmamk_f16 v25, v9, 0xb574, v27
	v_fma_f16 v18, v18, 0xbb00, -v26
	v_fma_f16 v8, v8, 0xbb00, -v27
	v_lshlrev_b32_e32 v26, 16, v28
	v_and_b32_e32 v27, 0xffff, v13
	v_fmac_f16_e32 v13, 0xbcab, v10
	v_fmac_f16_e32 v28, 0xbcab, v11
	v_fma_f16 v22, v22, 0x3574, -v29
	v_fma_f16 v9, v9, 0x3574, -v30
	v_fmac_f16_e32 v24, 0xb70e, v16
	v_fmac_f16_e32 v25, 0xb70e, v7
	v_add_f16_e32 v10, v12, v13
	v_add_f16_e32 v11, v17, v28
	v_fmac_f16_e32 v18, 0xb70e, v16
	v_fmac_f16_e32 v8, 0xb70e, v7
	v_fmac_f16_e32 v22, 0xb70e, v16
	v_fmac_f16_e32 v9, 0xb70e, v7
	v_add_f16_e32 v12, v20, v13
	v_add_f16_e32 v13, v14, v13
	;; [unrolled: 1-line block ×5, first 2 shown]
	v_sub_f16_e32 v17, v11, v24
	v_or_b32_e32 v7, v26, v27
	v_add_f16_e32 v20, v9, v13
	v_sub_f16_e32 v23, v14, v22
	v_sub_f16_e32 v26, v12, v8
	v_add_f16_e32 v27, v18, v15
	v_add_f16_e32 v8, v8, v12
	v_sub_f16_e32 v12, v15, v18
	v_sub_f16_e32 v9, v13, v9
	v_add_f16_e32 v13, v22, v14
	v_sub_f16_e32 v10, v10, v25
	v_add_f16_e32 v11, v24, v11
	v_pack_b32_f16 v14, v16, v17
	v_pack_b32_f16 v15, v20, v23
	;; [unrolled: 1-line block ×6, first 2 shown]
	ds_store_2addr_b32 v19, v7, v14 offset1:35
	ds_store_2addr_b32 v19, v15, v16 offset0:70 offset1:105
	ds_store_2addr_b32 v19, v8, v9 offset0:140 offset1:175
	ds_store_b32 v19, v10 offset:840
	global_wb scope:SCOPE_SE
	s_wait_dscnt 0x0
	s_barrier_signal -1
	s_barrier_wait -1
	global_inv scope:SCOPE_SE
	s_clause 0x1
	global_load_b128 v[7:10], v21, s[4:5] offset:168
	global_load_b64 v[11:12], v21, s[4:5] offset:184
	s_mul_i32 s4, s3, 49
	v_add_co_u32 v0, s3, s9, v6
	s_wait_alu 0xf1ff
	v_add_co_ci_u32_e64 v6, null, 0, 0, s3
	v_lshlrev_b64_e32 v[13:14], 2, v[1:2]
	s_delay_alu instid0(VALU_DEP_3) | instskip(SKIP_1) | instid1(VALU_DEP_4)
	v_mul_lo_u32 v25, v0, s1
	v_mad_co_u64_u32 v[21:22], null, v0, s0, 0
	v_mul_lo_u32 v6, v6, s0
	v_add_nc_u32_e32 v1, s4, v1
	s_mul_u64 s[0:1], s[6:7], s[22:23]
	s_lshl_b64 s[2:3], s[20:21], 2
	s_wait_alu 0xfffe
	s_lshl_b64 s[0:1], s[0:1], 2
	v_lshlrev_b64_e32 v[15:16], 2, v[1:2]
	v_add_nc_u32_e32 v1, s4, v1
	v_add3_u32 v22, v22, v25, v6
	s_wait_alu 0xfffe
	s_add_nc_u64 s[0:1], s[14:15], s[0:1]
	s_wait_alu 0xfffe
	s_add_nc_u64 s[0:1], s[0:1], s[2:3]
	v_lshlrev_b64_e32 v[17:18], 2, v[1:2]
	v_add_nc_u32_e32 v1, s4, v1
	v_lshlrev_b64_e32 v[21:22], 2, v[21:22]
	s_delay_alu instid0(VALU_DEP_2) | instskip(SKIP_2) | instid1(VALU_DEP_3)
	v_lshlrev_b64_e32 v[19:20], 2, v[1:2]
	v_add_nc_u32_e32 v1, s4, v1
	s_wait_alu 0xfffe
	v_add_co_u32 v6, vcc_lo, s0, v21
	s_wait_alu 0xfffd
	v_add_co_ci_u32_e32 v29, vcc_lo, s1, v22, vcc_lo
	v_lshlrev_b64_e32 v[23:24], 2, v[1:2]
	v_add_nc_u32_e32 v1, s4, v1
	v_add_co_u32 v13, vcc_lo, v6, v13
	ds_load_2addr_b32 v[21:22], v3 offset1:245
	ds_load_2addr_b32 v[27:28], v4 offset0:10 offset1:255
	ds_load_2addr_b32 v[4:5], v5 offset0:4 offset1:249
	ds_load_b32 v30, v3 offset:5880
	s_wait_alu 0xfffd
	v_add_co_ci_u32_e32 v14, vcc_lo, v29, v14, vcc_lo
	v_add_co_u32 v15, vcc_lo, v6, v15
	v_lshlrev_b64_e32 v[25:26], 2, v[1:2]
	v_add_nc_u32_e32 v1, s4, v1
	s_wait_alu 0xfffd
	v_add_co_ci_u32_e32 v16, vcc_lo, v29, v16, vcc_lo
	v_add_co_u32 v17, vcc_lo, v6, v17
	s_wait_alu 0xfffd
	v_add_co_ci_u32_e32 v18, vcc_lo, v29, v18, vcc_lo
	v_lshlrev_b64_e32 v[0:1], 2, v[1:2]
	v_add_co_u32 v2, vcc_lo, v6, v19
	s_wait_alu 0xfffd
	v_add_co_ci_u32_e32 v3, vcc_lo, v29, v20, vcc_lo
	v_add_co_u32 v19, vcc_lo, v6, v23
	s_wait_alu 0xfffd
	v_add_co_ci_u32_e32 v20, vcc_lo, v29, v24, vcc_lo
	v_add_co_u32 v23, vcc_lo, v6, v25
	s_wait_alu 0xfffd
	v_add_co_ci_u32_e32 v24, vcc_lo, v29, v26, vcc_lo
	v_add_co_u32 v0, vcc_lo, v6, v0
	s_wait_alu 0xfffd
	v_add_co_ci_u32_e32 v1, vcc_lo, v29, v1, vcc_lo
	s_wait_dscnt 0x3
	v_lshrrev_b32_e32 v6, 16, v22
	s_wait_dscnt 0x2
	v_lshrrev_b32_e32 v25, 16, v27
	;; [unrolled: 2-line block ×3, first 2 shown]
	v_lshrrev_b32_e32 v31, 16, v5
	s_wait_dscnt 0x0
	v_lshrrev_b32_e32 v32, 16, v30
	v_lshrrev_b32_e32 v26, 16, v28
	;; [unrolled: 1-line block ×3, first 2 shown]
	s_wait_loadcnt 0x1
	v_lshrrev_b32_e32 v34, 16, v7
	v_lshrrev_b32_e32 v35, 16, v8
	;; [unrolled: 1-line block ×3, first 2 shown]
	s_wait_loadcnt 0x0
	v_lshrrev_b32_e32 v38, 16, v11
	v_lshrrev_b32_e32 v39, 16, v12
	v_lshrrev_b32_e32 v36, 16, v9
	v_mul_f16_e32 v40, v34, v6
	v_mul_f16_e32 v34, v34, v22
	;; [unrolled: 1-line block ×12, first 2 shown]
	v_fmac_f16_e32 v40, v7, v22
	v_fma_f16 v6, v7, v6, -v34
	v_fmac_f16_e32 v41, v8, v27
	v_fma_f16 v7, v8, v25, -v35
	v_fmac_f16_e32 v43, v10, v4
	v_fmac_f16_e32 v45, v12, v30
	v_fma_f16 v4, v12, v32, -v39
	v_fmac_f16_e32 v44, v11, v5
	v_fma_f16 v5, v11, v31, -v38
	;; [unrolled: 2-line block ×3, first 2 shown]
	v_fma_f16 v9, v10, v29, -v37
	v_add_f16_e32 v10, v40, v45
	v_add_f16_e32 v11, v6, v4
	v_sub_f16_e32 v4, v6, v4
	v_add_f16_e32 v6, v41, v44
	v_add_f16_e32 v22, v7, v5
	v_sub_f16_e32 v25, v41, v44
	v_sub_f16_e32 v5, v7, v5
	v_add_f16_e32 v7, v42, v43
	v_add_f16_e32 v26, v8, v9
	v_sub_f16_e32 v27, v43, v42
	;; [unrolled: 4-line block ×3, first 2 shown]
	v_sub_f16_e32 v29, v6, v10
	v_sub_f16_e32 v30, v22, v11
	;; [unrolled: 1-line block ×6, first 2 shown]
	v_add_f16_e32 v31, v27, v25
	v_add_f16_e32 v32, v8, v5
	v_sub_f16_e32 v34, v27, v25
	v_sub_f16_e32 v35, v8, v5
	v_add_f16_e32 v7, v7, v9
	v_add_f16_e32 v9, v26, v28
	v_sub_f16_e32 v25, v25, v12
	v_sub_f16_e32 v5, v5, v4
	;; [unrolled: 1-line block ×4, first 2 shown]
	v_add_f16_e32 v12, v31, v12
	v_add_f16_e32 v4, v32, v4
	v_mul_f16_e32 v10, 0x3a52, v10
	v_mul_f16_e32 v11, 0x3a52, v11
	;; [unrolled: 1-line block ×6, first 2 shown]
	v_add_f16_e32 v21, v7, v21
	v_add_f16_e32 v33, v9, v33
	v_mul_f16_e32 v34, 0xbb00, v25
	v_mul_f16_e32 v35, 0xbb00, v5
	v_fmamk_f16 v6, v6, 0x2b26, v10
	v_fmamk_f16 v22, v22, 0x2b26, v11
	v_fma_f16 v26, v29, 0x39e0, -v26
	v_fma_f16 v28, v30, 0x39e0, -v28
	;; [unrolled: 1-line block ×4, first 2 shown]
	v_fmamk_f16 v29, v27, 0xb574, v31
	v_fmamk_f16 v30, v8, 0xb574, v32
	v_fma_f16 v25, v25, 0xbb00, -v31
	v_fma_f16 v5, v5, 0xbb00, -v32
	v_lshlrev_b32_e32 v31, 16, v33
	v_and_b32_e32 v32, 0xffff, v21
	v_fmac_f16_e32 v21, 0xbcab, v7
	v_fmac_f16_e32 v33, 0xbcab, v9
	v_fma_f16 v27, v27, 0x3574, -v34
	v_fma_f16 v8, v8, 0x3574, -v35
	v_fmac_f16_e32 v29, 0xb70e, v12
	v_fmac_f16_e32 v30, 0xb70e, v4
	v_add_f16_e32 v6, v6, v21
	v_add_f16_e32 v7, v22, v33
	v_fmac_f16_e32 v27, 0xb70e, v12
	v_fmac_f16_e32 v8, 0xb70e, v4
	v_add_f16_e32 v10, v10, v21
	v_add_f16_e32 v11, v11, v33
	;; [unrolled: 4-line block ×3, first 2 shown]
	v_or_b32_e32 v4, v31, v32
	v_add_f16_e32 v21, v30, v6
	v_sub_f16_e32 v22, v7, v29
	v_add_f16_e32 v26, v8, v10
	v_sub_f16_e32 v28, v11, v27
	v_sub_f16_e32 v31, v9, v5
	v_add_f16_e32 v32, v25, v12
	v_add_f16_e32 v5, v5, v9
	v_sub_f16_e32 v9, v12, v25
	v_sub_f16_e32 v8, v10, v8
	v_add_f16_e32 v10, v27, v11
	v_sub_f16_e32 v6, v6, v30
	v_add_f16_e32 v7, v29, v7
	global_store_b32 v[13:14], v4, off
	v_pack_b32_f16 v4, v21, v22
	v_pack_b32_f16 v11, v26, v28
	;; [unrolled: 1-line block ×6, first 2 shown]
	s_clause 0x5
	global_store_b32 v[15:16], v4, off
	global_store_b32 v[17:18], v11, off
	;; [unrolled: 1-line block ×6, first 2 shown]
	s_nop 0
	s_sendmsg sendmsg(MSG_DEALLOC_VGPRS)
	s_endpgm
	.section	.rodata,"a",@progbits
	.p2align	6, 0x0
	.amdhsa_kernel fft_rtc_back_len343_factors_7_7_7_wgs_245_tpt_49_half_op_CI_CI_sbrc_z_xy_diag_dirReg
		.amdhsa_group_segment_fixed_size 0
		.amdhsa_private_segment_fixed_size 0
		.amdhsa_kernarg_size 104
		.amdhsa_user_sgpr_count 2
		.amdhsa_user_sgpr_dispatch_ptr 0
		.amdhsa_user_sgpr_queue_ptr 0
		.amdhsa_user_sgpr_kernarg_segment_ptr 1
		.amdhsa_user_sgpr_dispatch_id 0
		.amdhsa_user_sgpr_private_segment_size 0
		.amdhsa_wavefront_size32 1
		.amdhsa_uses_dynamic_stack 0
		.amdhsa_enable_private_segment 0
		.amdhsa_system_sgpr_workgroup_id_x 1
		.amdhsa_system_sgpr_workgroup_id_y 0
		.amdhsa_system_sgpr_workgroup_id_z 0
		.amdhsa_system_sgpr_workgroup_info 0
		.amdhsa_system_vgpr_workitem_id 0
		.amdhsa_next_free_vgpr 46
		.amdhsa_next_free_sgpr 26
		.amdhsa_reserve_vcc 1
		.amdhsa_float_round_mode_32 0
		.amdhsa_float_round_mode_16_64 0
		.amdhsa_float_denorm_mode_32 3
		.amdhsa_float_denorm_mode_16_64 3
		.amdhsa_fp16_overflow 0
		.amdhsa_workgroup_processor_mode 1
		.amdhsa_memory_ordered 1
		.amdhsa_forward_progress 0
		.amdhsa_round_robin_scheduling 0
		.amdhsa_exception_fp_ieee_invalid_op 0
		.amdhsa_exception_fp_denorm_src 0
		.amdhsa_exception_fp_ieee_div_zero 0
		.amdhsa_exception_fp_ieee_overflow 0
		.amdhsa_exception_fp_ieee_underflow 0
		.amdhsa_exception_fp_ieee_inexact 0
		.amdhsa_exception_int_div_zero 0
	.end_amdhsa_kernel
	.text
.Lfunc_end0:
	.size	fft_rtc_back_len343_factors_7_7_7_wgs_245_tpt_49_half_op_CI_CI_sbrc_z_xy_diag_dirReg, .Lfunc_end0-fft_rtc_back_len343_factors_7_7_7_wgs_245_tpt_49_half_op_CI_CI_sbrc_z_xy_diag_dirReg
                                        ; -- End function
	.section	.AMDGPU.csdata,"",@progbits
; Kernel info:
; codeLenInByte = 4508
; NumSgprs: 28
; NumVgprs: 46
; ScratchSize: 0
; MemoryBound: 0
; FloatMode: 240
; IeeeMode: 1
; LDSByteSize: 0 bytes/workgroup (compile time only)
; SGPRBlocks: 3
; VGPRBlocks: 5
; NumSGPRsForWavesPerEU: 28
; NumVGPRsForWavesPerEU: 46
; Occupancy: 16
; WaveLimiterHint : 1
; COMPUTE_PGM_RSRC2:SCRATCH_EN: 0
; COMPUTE_PGM_RSRC2:USER_SGPR: 2
; COMPUTE_PGM_RSRC2:TRAP_HANDLER: 0
; COMPUTE_PGM_RSRC2:TGID_X_EN: 1
; COMPUTE_PGM_RSRC2:TGID_Y_EN: 0
; COMPUTE_PGM_RSRC2:TGID_Z_EN: 0
; COMPUTE_PGM_RSRC2:TIDIG_COMP_CNT: 0
	.text
	.p2alignl 7, 3214868480
	.fill 96, 4, 3214868480
	.type	__hip_cuid_20d6287527b697ae,@object ; @__hip_cuid_20d6287527b697ae
	.section	.bss,"aw",@nobits
	.globl	__hip_cuid_20d6287527b697ae
__hip_cuid_20d6287527b697ae:
	.byte	0                               ; 0x0
	.size	__hip_cuid_20d6287527b697ae, 1

	.ident	"AMD clang version 19.0.0git (https://github.com/RadeonOpenCompute/llvm-project roc-6.4.0 25133 c7fe45cf4b819c5991fe208aaa96edf142730f1d)"
	.section	".note.GNU-stack","",@progbits
	.addrsig
	.addrsig_sym __hip_cuid_20d6287527b697ae
	.amdgpu_metadata
---
amdhsa.kernels:
  - .args:
      - .actual_access:  read_only
        .address_space:  global
        .offset:         0
        .size:           8
        .value_kind:     global_buffer
      - .offset:         8
        .size:           8
        .value_kind:     by_value
      - .actual_access:  read_only
        .address_space:  global
        .offset:         16
        .size:           8
        .value_kind:     global_buffer
      - .actual_access:  read_only
        .address_space:  global
        .offset:         24
        .size:           8
        .value_kind:     global_buffer
      - .actual_access:  read_only
        .address_space:  global
        .offset:         32
        .size:           8
        .value_kind:     global_buffer
      - .offset:         40
        .size:           8
        .value_kind:     by_value
      - .actual_access:  read_only
        .address_space:  global
        .offset:         48
        .size:           8
        .value_kind:     global_buffer
      - .actual_access:  read_only
        .address_space:  global
        .offset:         56
        .size:           8
        .value_kind:     global_buffer
      - .offset:         64
        .size:           4
        .value_kind:     by_value
      - .actual_access:  read_only
        .address_space:  global
        .offset:         72
        .size:           8
        .value_kind:     global_buffer
      - .actual_access:  read_only
        .address_space:  global
        .offset:         80
        .size:           8
        .value_kind:     global_buffer
      - .actual_access:  read_only
        .address_space:  global
        .offset:         88
        .size:           8
        .value_kind:     global_buffer
      - .actual_access:  write_only
        .address_space:  global
        .offset:         96
        .size:           8
        .value_kind:     global_buffer
    .group_segment_fixed_size: 0
    .kernarg_segment_align: 8
    .kernarg_segment_size: 104
    .language:       OpenCL C
    .language_version:
      - 2
      - 0
    .max_flat_workgroup_size: 245
    .name:           fft_rtc_back_len343_factors_7_7_7_wgs_245_tpt_49_half_op_CI_CI_sbrc_z_xy_diag_dirReg
    .private_segment_fixed_size: 0
    .sgpr_count:     28
    .sgpr_spill_count: 0
    .symbol:         fft_rtc_back_len343_factors_7_7_7_wgs_245_tpt_49_half_op_CI_CI_sbrc_z_xy_diag_dirReg.kd
    .uniform_work_group_size: 1
    .uses_dynamic_stack: false
    .vgpr_count:     46
    .vgpr_spill_count: 0
    .wavefront_size: 32
    .workgroup_processor_mode: 1
amdhsa.target:   amdgcn-amd-amdhsa--gfx1201
amdhsa.version:
  - 1
  - 2
...

	.end_amdgpu_metadata
